;; amdgpu-corpus repo=ROCm/rocFFT kind=compiled arch=gfx90a opt=O3
	.text
	.amdgcn_target "amdgcn-amd-amdhsa--gfx90a"
	.amdhsa_code_object_version 6
	.protected	fft_rtc_fwd_len110_factors_2_5_11_wgs_198_tpt_11_sp_op_CI_CI_sbrr_dirReg ; -- Begin function fft_rtc_fwd_len110_factors_2_5_11_wgs_198_tpt_11_sp_op_CI_CI_sbrr_dirReg
	.globl	fft_rtc_fwd_len110_factors_2_5_11_wgs_198_tpt_11_sp_op_CI_CI_sbrr_dirReg
	.p2align	8
	.type	fft_rtc_fwd_len110_factors_2_5_11_wgs_198_tpt_11_sp_op_CI_CI_sbrr_dirReg,@function
fft_rtc_fwd_len110_factors_2_5_11_wgs_198_tpt_11_sp_op_CI_CI_sbrr_dirReg: ; @fft_rtc_fwd_len110_factors_2_5_11_wgs_198_tpt_11_sp_op_CI_CI_sbrr_dirReg
; %bb.0:
	s_load_dwordx4 s[16:19], s[4:5], 0x18
	s_load_dwordx4 s[12:15], s[4:5], 0x0
	;; [unrolled: 1-line block ×3, first 2 shown]
	v_mul_u32_u24_e32 v1, 0x1746, v0
	v_lshrrev_b32_e32 v2, 16, v1
	s_waitcnt lgkmcnt(0)
	s_load_dwordx2 s[2:3], s[16:17], 0x0
	s_load_dwordx2 s[20:21], s[18:19], 0x0
	v_mad_u64_u32 v[2:3], s[0:1], s6, 18, v[2:3]
	v_mov_b32_e32 v6, 0
	v_mov_b32_e32 v3, v6
	v_cmp_lt_u64_e64 s[0:1], s[14:15], 2
	v_pk_mov_b32 v[4:5], 0, 0
	s_and_b64 vcc, exec, s[0:1]
	v_pk_mov_b32 v[20:21], v[4:5], v[4:5] op_sel:[0,1]
	v_pk_mov_b32 v[22:23], v[2:3], v[2:3] op_sel:[0,1]
	s_cbranch_vccnz .LBB0_8
; %bb.1:
	s_load_dwordx2 s[0:1], s[4:5], 0x10
	s_add_u32 s6, s18, 8
	s_addc_u32 s7, s19, 0
	s_add_u32 s22, s16, 8
	s_addc_u32 s23, s17, 0
	s_waitcnt lgkmcnt(0)
	s_add_u32 s24, s0, 8
	v_pk_mov_b32 v[4:5], 0, 0
	s_addc_u32 s25, s1, 0
	s_mov_b64 s[26:27], 1
	v_pk_mov_b32 v[20:21], v[4:5], v[4:5] op_sel:[0,1]
	v_pk_mov_b32 v[8:9], v[2:3], v[2:3] op_sel:[0,1]
.LBB0_2:                                ; =>This Inner Loop Header: Depth=1
	s_load_dwordx2 s[28:29], s[24:25], 0x0
                                        ; implicit-def: $vgpr22_vgpr23
	s_waitcnt lgkmcnt(0)
	v_or_b32_e32 v7, s29, v9
	v_cmp_ne_u64_e32 vcc, 0, v[6:7]
	s_and_saveexec_b64 s[0:1], vcc
	s_xor_b64 s[30:31], exec, s[0:1]
	s_cbranch_execz .LBB0_4
; %bb.3:                                ;   in Loop: Header=BB0_2 Depth=1
	v_cvt_f32_u32_e32 v1, s28
	v_cvt_f32_u32_e32 v3, s29
	s_sub_u32 s0, 0, s28
	s_subb_u32 s1, 0, s29
	v_mac_f32_e32 v1, 0x4f800000, v3
	v_rcp_f32_e32 v1, v1
	v_mul_f32_e32 v1, 0x5f7ffffc, v1
	v_mul_f32_e32 v3, 0x2f800000, v1
	v_trunc_f32_e32 v3, v3
	v_mac_f32_e32 v1, 0xcf800000, v3
	v_cvt_u32_f32_e32 v3, v3
	v_cvt_u32_f32_e32 v1, v1
	v_mul_lo_u32 v7, s0, v3
	v_mul_hi_u32 v11, s0, v1
	v_mul_lo_u32 v10, s1, v1
	v_add_u32_e32 v7, v11, v7
	v_mul_lo_u32 v12, s0, v1
	v_add_u32_e32 v7, v7, v10
	v_mul_hi_u32 v11, v1, v12
	v_mul_lo_u32 v13, v1, v7
	v_mul_hi_u32 v10, v1, v7
	v_add_co_u32_e32 v11, vcc, v11, v13
	v_addc_co_u32_e32 v10, vcc, 0, v10, vcc
	v_mul_hi_u32 v14, v3, v12
	v_mul_lo_u32 v12, v3, v12
	v_add_co_u32_e32 v11, vcc, v11, v12
	v_mul_hi_u32 v13, v3, v7
	v_addc_co_u32_e32 v10, vcc, v10, v14, vcc
	v_addc_co_u32_e32 v11, vcc, 0, v13, vcc
	v_mul_lo_u32 v7, v3, v7
	v_add_co_u32_e32 v7, vcc, v10, v7
	v_addc_co_u32_e32 v10, vcc, 0, v11, vcc
	v_add_co_u32_e32 v1, vcc, v1, v7
	v_addc_co_u32_e32 v3, vcc, v3, v10, vcc
	v_mul_lo_u32 v7, s0, v3
	v_mul_hi_u32 v10, s0, v1
	v_add_u32_e32 v7, v10, v7
	v_mul_lo_u32 v10, s1, v1
	v_add_u32_e32 v7, v7, v10
	v_mul_lo_u32 v11, s0, v1
	v_mul_hi_u32 v12, v3, v11
	v_mul_lo_u32 v13, v3, v11
	v_mul_lo_u32 v15, v1, v7
	v_mul_hi_u32 v11, v1, v11
	v_mul_hi_u32 v14, v1, v7
	v_add_co_u32_e32 v11, vcc, v11, v15
	v_addc_co_u32_e32 v14, vcc, 0, v14, vcc
	v_add_co_u32_e32 v11, vcc, v11, v13
	v_mul_hi_u32 v10, v3, v7
	v_addc_co_u32_e32 v11, vcc, v14, v12, vcc
	v_addc_co_u32_e32 v10, vcc, 0, v10, vcc
	v_mul_lo_u32 v7, v3, v7
	v_add_co_u32_e32 v7, vcc, v11, v7
	v_addc_co_u32_e32 v10, vcc, 0, v10, vcc
	v_add_co_u32_e32 v1, vcc, v1, v7
	v_addc_co_u32_e32 v3, vcc, v3, v10, vcc
	v_mad_u64_u32 v[10:11], s[0:1], v8, v3, 0
	v_mul_hi_u32 v7, v8, v1
	v_add_co_u32_e32 v7, vcc, v7, v10
	v_addc_co_u32_e32 v14, vcc, 0, v11, vcc
	v_mad_u64_u32 v[12:13], s[0:1], v9, v1, 0
	v_add_co_u32_e32 v1, vcc, v7, v12
	v_mad_u64_u32 v[10:11], s[0:1], v9, v3, 0
	v_addc_co_u32_e32 v1, vcc, v14, v13, vcc
	v_addc_co_u32_e32 v3, vcc, 0, v11, vcc
	v_add_co_u32_e32 v1, vcc, v1, v10
	v_addc_co_u32_e32 v3, vcc, 0, v3, vcc
	v_mul_lo_u32 v7, s29, v1
	v_mul_lo_u32 v12, s28, v3
	v_mad_u64_u32 v[10:11], s[0:1], s28, v1, 0
	v_add3_u32 v7, v11, v12, v7
	v_sub_u32_e32 v11, v9, v7
	v_mov_b32_e32 v12, s29
	v_sub_co_u32_e32 v10, vcc, v8, v10
	v_subb_co_u32_e64 v11, s[0:1], v11, v12, vcc
	v_subrev_co_u32_e64 v12, s[0:1], s28, v10
	v_subbrev_co_u32_e64 v11, s[0:1], 0, v11, s[0:1]
	v_cmp_le_u32_e64 s[0:1], s29, v11
	v_cndmask_b32_e64 v13, 0, -1, s[0:1]
	v_cmp_le_u32_e64 s[0:1], s28, v12
	v_cndmask_b32_e64 v12, 0, -1, s[0:1]
	v_cmp_eq_u32_e64 s[0:1], s29, v11
	v_cndmask_b32_e64 v11, v13, v12, s[0:1]
	v_add_co_u32_e64 v12, s[0:1], 2, v1
	v_addc_co_u32_e64 v13, s[0:1], 0, v3, s[0:1]
	v_add_co_u32_e64 v14, s[0:1], 1, v1
	v_addc_co_u32_e64 v15, s[0:1], 0, v3, s[0:1]
	v_subb_co_u32_e32 v7, vcc, v9, v7, vcc
	v_cmp_ne_u32_e64 s[0:1], 0, v11
	v_cmp_le_u32_e32 vcc, s29, v7
	v_cndmask_b32_e64 v11, v15, v13, s[0:1]
	v_cndmask_b32_e64 v13, 0, -1, vcc
	v_cmp_le_u32_e32 vcc, s28, v10
	v_cndmask_b32_e64 v10, 0, -1, vcc
	v_cmp_eq_u32_e32 vcc, s29, v7
	v_cndmask_b32_e32 v7, v13, v10, vcc
	v_cmp_ne_u32_e32 vcc, 0, v7
	v_cndmask_b32_e32 v23, v3, v11, vcc
	v_cndmask_b32_e64 v3, v14, v12, s[0:1]
	v_cndmask_b32_e32 v22, v1, v3, vcc
.LBB0_4:                                ;   in Loop: Header=BB0_2 Depth=1
	s_andn2_saveexec_b64 s[0:1], s[30:31]
	s_cbranch_execz .LBB0_6
; %bb.5:                                ;   in Loop: Header=BB0_2 Depth=1
	v_cvt_f32_u32_e32 v1, s28
	s_sub_i32 s30, 0, s28
	v_mov_b32_e32 v23, v6
	v_rcp_iflag_f32_e32 v1, v1
	v_mul_f32_e32 v1, 0x4f7ffffe, v1
	v_cvt_u32_f32_e32 v1, v1
	v_mul_lo_u32 v3, s30, v1
	v_mul_hi_u32 v3, v1, v3
	v_add_u32_e32 v1, v1, v3
	v_mul_hi_u32 v1, v8, v1
	v_mul_lo_u32 v3, v1, s28
	v_sub_u32_e32 v3, v8, v3
	v_add_u32_e32 v7, 1, v1
	v_subrev_u32_e32 v10, s28, v3
	v_cmp_le_u32_e32 vcc, s28, v3
	v_cndmask_b32_e32 v3, v3, v10, vcc
	v_cndmask_b32_e32 v1, v1, v7, vcc
	v_add_u32_e32 v7, 1, v1
	v_cmp_le_u32_e32 vcc, s28, v3
	v_cndmask_b32_e32 v22, v1, v7, vcc
.LBB0_6:                                ;   in Loop: Header=BB0_2 Depth=1
	s_or_b64 exec, exec, s[0:1]
	v_mad_u64_u32 v[10:11], s[0:1], v22, s28, 0
	s_load_dwordx2 s[0:1], s[22:23], 0x0
	s_add_u32 s26, s26, 1
	v_mul_lo_u32 v1, v23, s28
	v_mul_lo_u32 v3, v22, s29
	s_load_dwordx2 s[28:29], s[6:7], 0x0
	s_addc_u32 s27, s27, 0
	v_add3_u32 v1, v11, v3, v1
	v_sub_co_u32_e32 v3, vcc, v8, v10
	s_add_u32 s6, s6, 8
	v_subb_co_u32_e32 v1, vcc, v9, v1, vcc
	s_addc_u32 s7, s7, 0
	s_waitcnt lgkmcnt(0)
	v_mul_lo_u32 v7, s0, v1
	v_mul_lo_u32 v8, s1, v3
	v_mad_u64_u32 v[4:5], s[0:1], s0, v3, v[4:5]
	s_add_u32 s22, s22, 8
	v_add3_u32 v5, v8, v5, v7
	s_addc_u32 s23, s23, 0
	v_pk_mov_b32 v[8:9], s[14:15], s[14:15] op_sel:[0,1]
	v_mul_lo_u32 v1, s28, v1
	v_mul_lo_u32 v7, s29, v3
	v_mad_u64_u32 v[20:21], s[0:1], s28, v3, v[20:21]
	s_add_u32 s24, s24, 8
	v_cmp_ge_u64_e32 vcc, s[26:27], v[8:9]
	v_add3_u32 v21, v7, v21, v1
	s_addc_u32 s25, s25, 0
	s_cbranch_vccnz .LBB0_8
; %bb.7:                                ;   in Loop: Header=BB0_2 Depth=1
	v_pk_mov_b32 v[8:9], v[22:23], v[22:23] op_sel:[0,1]
	s_branch .LBB0_2
.LBB0_8:
	s_load_dwordx2 s[0:1], s[4:5], 0x28
	s_lshl_b64 s[14:15], s[14:15], 3
	s_add_u32 s4, s18, s14
	s_addc_u32 s5, s19, s15
                                        ; implicit-def: $sgpr18_sgpr19
                                        ; implicit-def: $vgpr30
                                        ; implicit-def: $vgpr1
                                        ; implicit-def: $vgpr3
                                        ; implicit-def: $vgpr31
	s_waitcnt lgkmcnt(0)
	v_cmp_gt_u64_e32 vcc, s[0:1], v[22:23]
	v_cmp_le_u64_e64 s[0:1], s[0:1], v[22:23]
	s_and_saveexec_b64 s[6:7], s[0:1]
	s_xor_b64 s[0:1], exec, s[6:7]
; %bb.9:
	s_mov_b32 s6, 0x1745d175
	v_mul_hi_u32 v1, v0, s6
	v_mul_u32_u24_e32 v1, 11, v1
	v_sub_u32_e32 v30, v0, v1
	v_add_u32_e32 v1, 11, v30
	v_add_u32_e32 v3, 22, v30
	;; [unrolled: 1-line block ×3, first 2 shown]
	s_mov_b64 s[18:19], 0
                                        ; implicit-def: $vgpr0
                                        ; implicit-def: $vgpr4_vgpr5
; %bb.10:
	s_or_saveexec_b64 s[6:7], s[0:1]
	v_pk_mov_b32 v[8:9], s[18:19], s[18:19] op_sel:[0,1]
	v_pk_mov_b32 v[6:7], s[18:19], s[18:19] op_sel:[0,1]
	;; [unrolled: 1-line block ×5, first 2 shown]
                                        ; implicit-def: $vgpr28
                                        ; implicit-def: $vgpr12
                                        ; implicit-def: $vgpr18
                                        ; implicit-def: $vgpr24
                                        ; implicit-def: $vgpr10
	s_xor_b64 exec, exec, s[6:7]
	s_cbranch_execz .LBB0_12
; %bb.11:
	s_add_u32 s0, s16, s14
	s_addc_u32 s1, s17, s15
	s_load_dwordx2 s[0:1], s[0:1], 0x0
	s_mov_b32 s14, 0x1745d175
	v_lshlrev_b64 v[4:5], 3, v[4:5]
	s_waitcnt lgkmcnt(0)
	v_mul_lo_u32 v1, s1, v22
	v_mul_lo_u32 v3, s0, v23
	v_mad_u64_u32 v[6:7], s[0:1], s0, v22, 0
	v_add3_u32 v7, v7, v3, v1
	v_mul_hi_u32 v1, v0, s14
	v_mul_u32_u24_e32 v1, 11, v1
	v_sub_u32_e32 v30, v0, v1
	v_mad_u64_u32 v[0:1], s[0:1], s2, v30, 0
	v_mov_b32_e32 v8, v1
	v_mad_u64_u32 v[8:9], s[0:1], s3, v30, v[8:9]
	v_lshlrev_b64 v[6:7], 3, v[6:7]
	v_mov_b32_e32 v3, s9
	v_add_co_u32_e64 v6, s[0:1], s8, v6
	v_addc_co_u32_e64 v3, s[0:1], v3, v7, s[0:1]
	v_mov_b32_e32 v1, v8
	v_add_co_u32_e64 v34, s[0:1], v6, v4
	v_addc_co_u32_e64 v35, s[0:1], v3, v5, s[0:1]
	v_lshlrev_b64 v[0:1], 3, v[0:1]
	v_add_co_u32_e64 v4, s[0:1], v34, v0
	v_add_u32_e32 v3, 55, v30
	v_addc_co_u32_e64 v5, s[0:1], v35, v1, s[0:1]
	v_mad_u64_u32 v[0:1], s[0:1], s2, v3, 0
	v_mov_b32_e32 v6, v1
	v_mad_u64_u32 v[6:7], s[0:1], s3, v3, v[6:7]
	v_mov_b32_e32 v1, v6
	v_lshlrev_b64 v[0:1], 3, v[0:1]
	v_add_co_u32_e64 v14, s[0:1], v34, v0
	v_addc_co_u32_e64 v15, s[0:1], v35, v1, s[0:1]
	v_add_u32_e32 v1, 11, v30
	v_mad_u64_u32 v[6:7], s[0:1], s2, v1, 0
	v_mov_b32_e32 v0, v7
	v_mad_u64_u32 v[8:9], s[0:1], s3, v1, v[0:1]
	v_mov_b32_e32 v7, v8
	v_lshlrev_b64 v[6:7], 3, v[6:7]
	v_add_co_u32_e64 v16, s[0:1], v34, v6
	v_add_u32_e32 v3, 0x42, v30
	v_addc_co_u32_e64 v17, s[0:1], v35, v7, s[0:1]
	v_mad_u64_u32 v[6:7], s[0:1], s2, v3, 0
	v_mov_b32_e32 v0, v7
	v_mad_u64_u32 v[8:9], s[0:1], s3, v3, v[0:1]
	v_mov_b32_e32 v7, v8
	v_lshlrev_b64 v[6:7], 3, v[6:7]
	v_add_co_u32_e64 v18, s[0:1], v34, v6
	v_add_u32_e32 v3, 22, v30
	v_addc_co_u32_e64 v19, s[0:1], v35, v7, s[0:1]
	global_load_dwordx2 v[8:9], v[4:5], off
	global_load_dwordx2 v[12:13], v[14:15], off
	;; [unrolled: 1-line block ×4, first 2 shown]
	v_mad_u64_u32 v[4:5], s[0:1], s2, v3, 0
	v_mov_b32_e32 v0, v5
	v_mad_u64_u32 v[14:15], s[0:1], s3, v3, v[0:1]
	v_mov_b32_e32 v5, v14
	v_lshlrev_b64 v[4:5], 3, v[4:5]
	v_add_co_u32_e64 v4, s[0:1], v34, v4
	v_add_u32_e32 v16, 0x4d, v30
	v_addc_co_u32_e64 v5, s[0:1], v35, v5, s[0:1]
	v_mad_u64_u32 v[14:15], s[0:1], s2, v16, 0
	v_mov_b32_e32 v0, v15
	v_mad_u64_u32 v[16:17], s[0:1], s3, v16, v[0:1]
	v_mov_b32_e32 v15, v16
	v_lshlrev_b64 v[14:15], 3, v[14:15]
	v_add_co_u32_e64 v26, s[0:1], v34, v14
	v_add_u32_e32 v16, 33, v30
	v_addc_co_u32_e64 v27, s[0:1], v35, v15, s[0:1]
	;; [unrolled: 8-line block ×4, first 2 shown]
	global_load_dwordx2 v[16:17], v[4:5], off
	global_load_dwordx2 v[24:25], v[26:27], off
	;; [unrolled: 1-line block ×4, first 2 shown]
	v_mad_u64_u32 v[4:5], s[0:1], s2, v31, 0
	v_mov_b32_e32 v0, v5
	v_mad_u64_u32 v[26:27], s[0:1], s3, v31, v[0:1]
	v_mov_b32_e32 v5, v26
	v_lshlrev_b64 v[4:5], 3, v[4:5]
	v_add_co_u32_e64 v4, s[0:1], v34, v4
	v_add_u32_e32 v28, 0x63, v30
	v_addc_co_u32_e64 v5, s[0:1], v35, v5, s[0:1]
	v_mad_u64_u32 v[26:27], s[0:1], s2, v28, 0
	v_mov_b32_e32 v0, v27
	v_mad_u64_u32 v[28:29], s[0:1], s3, v28, v[0:1]
	v_mov_b32_e32 v27, v28
	v_lshlrev_b64 v[26:27], 3, v[26:27]
	v_add_co_u32_e64 v32, s[0:1], v34, v26
	v_addc_co_u32_e64 v33, s[0:1], v35, v27, s[0:1]
	global_load_dwordx2 v[26:27], v[4:5], off
	global_load_dwordx2 v[28:29], v[32:33], off
.LBB0_12:
	s_or_b64 exec, exec, s[6:7]
	s_mov_b32 s0, 0x38e38e39
	v_mul_hi_u32 v0, v2, s0
	v_lshrrev_b32_e32 v0, 2, v0
	v_mul_lo_u32 v0, v0, 18
	v_sub_u32_e32 v0, v2, v0
	v_mul_u32_u24_e32 v0, 0x6e, v0
	v_lshl_add_u32 v60, v0, 3, 0
	s_waitcnt vmcnt(8)
	v_pk_add_f32 v[4:5], v[8:9], v[12:13] neg_lo:[0,1] neg_hi:[0,1]
	v_lshl_add_u32 v0, v30, 4, v60
	v_pk_fma_f32 v[8:9], v[8:9], 2.0, v[4:5] op_sel_hi:[1,0,1] neg_lo:[0,0,1] neg_hi:[0,0,1]
	ds_write2_b64 v0, v[8:9], v[4:5] offset1:1
	s_waitcnt vmcnt(6)
	v_pk_add_f32 v[4:5], v[6:7], v[10:11] neg_lo:[0,1] neg_hi:[0,1]
	v_lshl_add_u32 v2, v1, 4, v60
	v_pk_fma_f32 v[6:7], v[6:7], 2.0, v[4:5] op_sel_hi:[1,0,1] neg_lo:[0,0,1] neg_hi:[0,0,1]
	ds_write2_b64 v2, v[6:7], v[4:5] offset1:1
	;; [unrolled: 5-line block ×3, first 2 shown]
	s_waitcnt vmcnt(2)
	v_pk_add_f32 v[4:5], v[14:15], v[18:19] neg_lo:[0,1] neg_hi:[0,1]
	v_pk_fma_f32 v[6:7], v[14:15], 2.0, v[4:5] op_sel_hi:[1,0,1] neg_lo:[0,0,1] neg_hi:[0,0,1]
	ds_write2_b64 v0, v[6:7], v[4:5] offset0:66 offset1:67
	s_waitcnt vmcnt(0)
	v_pk_add_f32 v[4:5], v[26:27], v[28:29] neg_lo:[0,1] neg_hi:[0,1]
	v_and_b32_e32 v50, 1, v1
	v_and_b32_e32 v56, 1, v30
	v_lshl_add_u32 v16, v31, 4, v60
	v_pk_fma_f32 v[6:7], v[26:27], 2.0, v[4:5] op_sel_hi:[1,0,1] neg_lo:[0,0,1] neg_hi:[0,0,1]
	v_lshlrev_b32_e32 v12, 5, v50
	v_lshlrev_b32_e32 v17, 5, v56
	s_load_dwordx2 s[4:5], s[4:5], 0x0
	ds_write2_b64 v16, v[6:7], v[4:5] offset1:1
	s_waitcnt lgkmcnt(0)
	s_barrier
	global_load_dwordx4 v[4:7], v12, s[12:13]
	global_load_dwordx4 v[8:11], v12, s[12:13] offset:16
	s_nop 0
	global_load_dwordx4 v[12:15], v17, s[12:13] offset:16
	global_load_dwordx4 v[24:27], v17, s[12:13]
	v_lshlrev_b32_e32 v17, 3, v30
	v_lshlrev_b32_e32 v18, 3, v31
	;; [unrolled: 1-line block ×4, first 2 shown]
	v_add_u32_e32 v19, v60, v17
	v_sub_u32_e32 v16, v16, v18
	v_sub_u32_e32 v31, v32, v3
	;; [unrolled: 1-line block ×4, first 2 shown]
	ds_read_b64 v[2:3], v19
	ds_read_b64 v[16:17], v16
	ds_read2_b64 v[32:35], v18 offset0:55 offset1:66
	ds_read2_b64 v[36:39], v18 offset0:77 offset1:88
	ds_read2_b32 v[28:29], v18 offset0:66 offset1:67
	ds_read_b64 v[40:41], v31
	ds_read_b64 v[42:43], v18 offset:792
	s_waitcnt lgkmcnt(4)
	v_mov_b32_e32 v0, v33
	s_waitcnt lgkmcnt(3)
	v_mov_b32_e32 v31, v36
	s_mov_b32 s2, 0x3e9e377a
	s_mov_b32 s3, 0x3f167918
	;; [unrolled: 1-line block ×6, first 2 shown]
	s_waitcnt vmcnt(3) lgkmcnt(2)
	v_mul_f32_e32 v45, v4, v28
	s_waitcnt vmcnt(1)
	v_pk_mul_f32 v[52:53], v[12:13], v[34:35] op_sel:[0,1]
	v_pk_mul_f32 v[48:49], v[36:37], v[8:9]
	v_mov_b32_e32 v51, v8
	v_pk_mul_f32 v[8:9], v[30:31], v[8:9]
	v_pk_fma_f32 v[54:55], v[12:13], v[34:35], v[52:53] op_sel:[0,0,1] op_sel_hi:[1,1,0] neg_lo:[0,0,1] neg_hi:[0,0,1]
	v_pk_fma_f32 v[12:13], v[12:13], v[34:35], v[52:53] op_sel:[0,0,1] op_sel_hi:[1,0,0]
	v_mov_b32_e32 v31, v10
	v_mul_f32_e32 v53, v5, v28
	v_pk_mul_f32 v[46:47], v[32:33], v[6:7]
	v_mov_b32_e32 v44, v7
	s_waitcnt lgkmcnt(0)
	v_pk_mul_f32 v[34:35], v[42:43], v[10:11]
	v_pk_mul_f32 v[10:11], v[42:43], v[10:11] op_sel:[1,0] op_sel_hi:[0,1]
	v_fmac_f32_e32 v53, v29, v4
	v_mul_f32_e32 v5, v29, v5
	s_waitcnt vmcnt(0)
	v_mov_b32_e32 v28, v27
	v_mov_b32_e32 v29, v26
	v_pk_mul_f32 v[42:43], v[42:43], v[30:31] op_sel:[1,0] op_sel_hi:[0,1]
	v_pk_mul_f32 v[32:33], v[32:33], v[44:45]
	v_mov_b32_e32 v44, v46
	v_mov_b32_e32 v4, v47
	v_pk_mul_f32 v[36:37], v[36:37], v[50:51]
	v_mov_b32_e32 v34, v49
	v_pk_mul_f32 v[28:29], v[28:29], v[16:17] op_sel:[0,1]
	v_mov_b32_e32 v42, v48
	v_pk_mul_f32 v[46:47], v[14:15], v[38:39] op_sel:[0,1]
	v_mov_b32_e32 v8, v11
	v_pk_add_f32 v[4:5], v[44:45], v[4:5] neg_lo:[0,1] neg_hi:[0,1]
	v_pk_fma_f32 v[32:33], v[0:1], v[6:7], v[32:33]
	v_mov_b32_e32 v36, v10
	v_pk_fma_f32 v[6:7], v[26:27], v[16:17], v[28:29] neg_lo:[0,0,1] neg_hi:[0,0,1]
	v_pk_fma_f32 v[10:11], v[26:27], v[16:17], v[28:29] op_sel_hi:[1,0,1]
	v_pk_add_f32 v[16:17], v[42:43], v[34:35] neg_lo:[0,1] neg_hi:[0,1]
	v_pk_add_f32 v[26:27], v[36:37], v[8:9]
	v_pk_fma_f32 v[8:9], v[14:15], v[38:39], v[46:47] op_sel:[0,0,1] op_sel_hi:[1,1,0] neg_lo:[0,0,1] neg_hi:[0,0,1]
	v_pk_fma_f32 v[14:15], v[14:15], v[38:39], v[46:47] op_sel:[0,0,1] op_sel_hi:[1,0,0]
	v_mov_b32_e32 v36, v5
	v_mov_b32_e32 v37, v17
	;; [unrolled: 1-line block ×4, first 2 shown]
	v_pk_add_f32 v[42:43], v[36:37], v[38:39] neg_lo:[0,1] neg_hi:[0,1]
	v_mov_b32_e32 v0, v43
	v_pk_add_f32 v[36:37], v[38:39], v[36:37] neg_lo:[0,1] neg_hi:[0,1]
	v_pk_add_f32 v[42:43], v[42:43], v[0:1]
	v_mov_b32_e32 v0, v37
	ds_read_b64 v[44:45], v57
	v_pk_add_f32 v[36:37], v[36:37], v[0:1]
	v_lshrrev_b32_e32 v0, 1, v30
	v_mul_u32_u24_e32 v0, 10, v0
	v_or_b32_e32 v37, v0, v56
	v_lshrrev_b32_e32 v0, 1, v1
	v_mul_lo_u32 v0, v0, 10
	v_mov_b32_e32 v52, v5
	v_pk_add_f32 v[28:29], v[4:5], v[16:17]
	v_pk_add_f32 v[38:39], v[4:5], v[16:17] neg_lo:[0,1] neg_hi:[0,1]
	v_or_b32_e32 v43, v0, v50
	s_waitcnt lgkmcnt(0)
	v_pk_add_f32 v[0:1], v[44:45], v[52:53]
	v_mov_b32_e32 v5, v32
	v_pk_add_f32 v[0:1], v[0:1], v[4:5]
	v_mov_b32_e32 v4, v16
	v_mov_b32_e32 v5, v27
	v_pk_add_f32 v[0:1], v[0:1], v[4:5]
	v_pk_mul_f32 v[4:5], v[24:25], v[40:41] op_sel:[0,1]
	v_pk_fma_f32 v[46:47], v[24:25], v[40:41], v[4:5] op_sel:[0,0,1] op_sel_hi:[1,1,0] neg_lo:[0,0,1] neg_hi:[0,0,1]
	v_pk_fma_f32 v[4:5], v[24:25], v[40:41], v[4:5] op_sel:[0,0,1] op_sel_hi:[1,0,0]
	v_mov_b32_e32 v55, v13
	v_mov_b32_e32 v7, v11
	;; [unrolled: 1-line block ×4, first 2 shown]
	v_pk_add_f32 v[24:25], v[46:47], v[6:7] neg_lo:[0,1] neg_hi:[0,1]
	v_pk_add_f32 v[40:41], v[8:9], v[54:55] neg_lo:[0,1] neg_hi:[0,1]
	v_mov_b32_e32 v14, v13
	v_mov_b32_e32 v12, v54
	;; [unrolled: 1-line block ×4, first 2 shown]
	v_pk_add_f32 v[40:41], v[24:25], v[40:41]
	v_mov_b32_e32 v24, v6
	v_mov_b32_e32 v25, v46
	v_pk_add_f32 v[4:5], v[4:5], v[14:15] neg_lo:[0,1] neg_hi:[0,1]
	v_pk_add_f32 v[12:13], v[24:25], v[12:13] neg_lo:[0,1] neg_hi:[0,1]
	v_pk_mul_f32 v[14:15], v[4:5], s[6:7]
	v_pk_add_f32 v[10:11], v[6:7], v[54:55]
	v_pk_mul_f32 v[24:25], v[12:13], s[6:7]
	v_pk_fma_f32 v[10:11], v[10:11], 0.5, v[2:3] op_sel_hi:[1,0,1] neg_lo:[1,0,0] neg_hi:[1,0,0]
	v_mov_b32_e32 v50, v15
	v_mov_b32_e32 v51, v25
	v_pk_add_f32 v[56:57], v[10:11], v[50:51]
	v_pk_add_f32 v[50:51], v[10:11], v[50:51] neg_lo:[0,1] neg_hi:[0,1]
	v_mov_b32_e32 v15, v24
	v_pk_fma_f32 v[10:11], v[4:5], s[6:7], v[56:57]
	v_pk_add_f32 v[24:25], v[50:51], v[14:15] neg_lo:[0,1] neg_hi:[0,1]
	v_mov_b32_e32 v11, v25
	v_pk_add_f32 v[24:25], v[2:3], v[46:47]
	v_pk_add_f32 v[24:25], v[24:25], v[6:7]
	;; [unrolled: 1-line block ×3, first 2 shown]
	v_pk_mul_f32 v[48:49], v[4:5], s[0:1]
	v_pk_add_f32 v[24:25], v[24:25], v[8:9]
	v_pk_add_f32 v[54:55], v[54:55], v[8:9] neg_lo:[0,1] neg_hi:[0,1]
	v_pk_add_f32 v[8:9], v[46:47], v[8:9]
	v_pk_mul_f32 v[58:59], v[12:13], s[0:1]
	v_pk_fma_f32 v[2:3], v[8:9], 0.5, v[2:3] op_sel_hi:[1,0,1] neg_lo:[1,0,0] neg_hi:[1,0,0]
	v_mov_b32_e32 v8, v48
	v_mov_b32_e32 v9, v58
	v_pk_add_f32 v[6:7], v[6:7], v[46:47] neg_lo:[0,1] neg_hi:[0,1]
	v_pk_add_f32 v[46:47], v[2:3], v[8:9] neg_lo:[0,1] neg_hi:[0,1]
	v_pk_add_f32 v[2:3], v[2:3], v[8:9]
	v_mov_b32_e32 v58, v49
	v_pk_add_f32 v[48:49], v[46:47], v[58:59]
	v_pk_fma_f32 v[8:9], v[12:13], s[0:1], v[2:3] neg_lo:[1,0,0] neg_hi:[1,0,0]
	v_add_f32_e32 v35, v32, v27
	v_pk_add_f32 v[6:7], v[6:7], v[54:55]
	v_mov_b32_e32 v49, v9
	v_mov_b32_e32 v31, v26
	v_pk_add_f32 v[2:3], v[2:3], v[58:59] neg_lo:[0,1] neg_hi:[0,1]
	v_pk_fma_f32 v[12:13], v[12:13], s[0:1], v[46:47]
	v_sub_f32_e32 v61, v53, v26
	v_pk_fma_f32 v[8:9], v[40:41], s[2:3], v[10:11] op_sel_hi:[1,0,1]
	v_pk_fma_f32 v[10:11], v[6:7], s[2:3], v[48:49] op_sel_hi:[1,0,1]
	v_pk_add_f32 v[48:49], v[30:31], v[26:27] neg_lo:[0,1] neg_hi:[0,1]
	v_add_f32_e32 v62, v53, v26
	v_pk_add_f32 v[54:55], v[26:27], v[30:31] neg_lo:[0,1] neg_hi:[0,1]
	v_mov_b32_e32 v16, v17
	v_mov_b32_e32 v17, v26
	;; [unrolled: 1-line block ×4, first 2 shown]
	v_pk_mul_f32 v[46:47], v[38:39], s[6:7]
	v_pk_fma_f32 v[50:51], v[4:5], s[6:7], v[50:51] neg_lo:[1,0,0] neg_hi:[1,0,0]
	v_fma_f32 v13, -0.5, v35, v45
	v_pk_add_f32 v[4:5], v[56:57], v[14:15]
	v_pk_add_f32 v[26:27], v[32:33], v[26:27] neg_lo:[0,1] neg_hi:[0,1]
	v_sub_f32_e32 v4, v13, v47
	v_mul_f32_e32 v28, 0.5, v28
	v_lshl_add_u32 v48, v37, 3, v60
	v_lshl_add_u32 v60, v43, 3, v60
	v_mov_b32_e32 v43, v26
	v_mul_f32_e32 v52, 0.5, v29
	v_pk_mul_f32 v[58:59], v[38:39], s[0:1]
	v_sub_f32_e32 v15, v4, v46
	v_fma_f32 v4, -0.5, v62, v45
	v_mov_b32_e32 v45, v53
	v_mov_b32_e32 v29, v32
	v_mul_f32_e32 v34, 0x3f737871, v61
	v_pk_mul_f32 v[42:43], v[42:43], s[2:3]
	v_mov_b32_e32 v37, v61
	v_mov_b32_e32 v51, v5
	v_add_f32_e32 v5, v58, v4
	v_pk_add_f32 v[28:29], v[44:45], v[28:29] neg_lo:[0,1] neg_hi:[0,1]
	v_mov_b32_e32 v35, v49
	v_pk_mul_f32 v[36:37], v[36:37], s[2:3]
	v_pk_add_f32 v[0:1], v[0:1], v[16:17]
	v_sub_f32_e32 v17, v5, v59
	v_sub_f32_e32 v31, v4, v58
	v_pk_fma_f32 v[4:5], v[6:7], s[2:3], v[2:3] op_sel_hi:[1,0,1]
	v_pk_fma_f32 v[6:7], v[40:41], s[2:3], v[50:51] op_sel_hi:[1,0,1]
	v_pk_add_f32 v[2:3], v[28:29], v[34:35]
	v_mov_b32_e32 v14, v43
	s_mov_b32 s3, s2
	v_pk_add_f32 v[34:35], v[14:15], v[2:3]
	v_pk_mul_f32 v[40:41], v[2:3], s[2:3]
	v_mov_b32_e32 v35, v41
	v_mov_b32_e32 v14, v42
	;; [unrolled: 1-line block ×3, first 2 shown]
	v_mul_f32_e32 v12, 0x3f737871, v26
	v_add_f32_e32 v27, v13, v47
	v_pk_add_f32 v[2:3], v[14:15], v[34:35]
	v_pk_add_f32 v[14:15], v[44:45], v[52:53] neg_lo:[0,1] neg_hi:[0,1]
	v_mov_b32_e32 v13, v55
	v_pk_add_f32 v[12:13], v[14:15], v[12:13] neg_lo:[0,1] neg_hi:[0,1]
	v_pk_add_f32 v[32:33], v[14:15], v[54:55]
	v_mov_b32_e32 v16, v37
	v_pk_add_f32 v[12:13], v[16:17], v[12:13]
	v_pk_mul_f32 v[32:33], v[32:33], s[2:3]
	v_mov_b32_e32 v13, v33
	v_fmac_f32_e32 v14, 0x3f737871, v26
	v_mov_b32_e32 v16, v36
	v_mov_b32_e32 v15, v31
	;; [unrolled: 1-line block ×3, first 2 shown]
	v_pk_add_f32 v[12:13], v[16:17], v[12:13]
	v_pk_add_f32 v[16:17], v[14:15], v[58:59] neg_lo:[0,1] neg_hi:[0,1]
	v_pk_fma_f32 v[14:15], v[38:39], s[0:1], v[14:15]
	v_mov_b32_e32 v17, v15
	v_mov_b32_e32 v37, v33
	v_fmac_f32_e32 v28, 0xbf737871, v61
	v_pk_add_f32 v[14:15], v[36:37], v[16:17]
	v_mov_b32_e32 v29, v27
	v_mov_b32_e32 v16, v43
	;; [unrolled: 1-line block ×3, first 2 shown]
	v_pk_add_f32 v[26:27], v[28:29], v[16:17] neg_lo:[0,1] neg_hi:[0,1]
	v_pk_add_f32 v[16:17], v[28:29], v[16:17]
	v_mov_b32_e32 v27, v17
	v_mov_b32_e32 v43, v41
	v_pk_add_f32 v[16:17], v[42:43], v[26:27]
	v_cmp_gt_u32_e64 s[0:1], 10, v30
	s_barrier
	ds_write2_b64 v48, v[24:25], v[8:9] offset1:2
	ds_write2_b64 v48, v[10:11], v[4:5] offset0:4 offset1:6
	ds_write_b64 v48, v[6:7] offset:64
	ds_write2_b64 v60, v[0:1], v[2:3] offset1:2
	ds_write2_b64 v60, v[12:13], v[14:15] offset0:4 offset1:6
	ds_write_b64 v60, v[16:17] offset:64
	s_waitcnt lgkmcnt(0)
	s_barrier
	s_and_saveexec_b64 s[2:3], s[0:1]
	s_cbranch_execz .LBB0_14
; %bb.13:
	ds_read_b64 v[24:25], v19
	ds_read2_b64 v[8:11], v18 offset0:10 offset1:20
	ds_read2_b64 v[4:7], v18 offset0:30 offset1:40
	;; [unrolled: 1-line block ×5, first 2 shown]
.LBB0_14:
	s_or_b64 exec, exec, s[2:3]
	v_cmp_gt_u32_e64 s[2:3], 10, v30
	s_and_b64 s[2:3], vcc, s[2:3]
	s_and_saveexec_b64 s[6:7], s[2:3]
	s_cbranch_execz .LBB0_16
; %bb.15:
	v_add_u32_e32 v26, -10, v30
	v_cndmask_b32_e64 v26, v26, v30, s[0:1]
	v_mul_i32_i24_e32 v26, 10, v26
	v_mov_b32_e32 v27, 0
	v_lshlrev_b64 v[26:27], 3, v[26:27]
	v_mov_b32_e32 v28, s13
	v_add_co_u32_e32 v44, vcc, s12, v26
	v_addc_co_u32_e32 v45, vcc, v28, v27, vcc
	global_load_dwordx4 v[26:29], v[44:45], off offset:64
	global_load_dwordx4 v[32:35], v[44:45], off offset:128
	;; [unrolled: 1-line block ×4, first 2 shown]
	s_waitcnt lgkmcnt(4)
	v_mov_b32_e32 v50, v9
	global_load_dwordx4 v[44:47], v[44:45], off offset:96
	v_mov_b32_e32 v52, v11
	v_mul_lo_u32 v31, s5, v22
	v_mul_lo_u32 v56, s4, v23
	v_mad_u64_u32 v[22:23], s[0:1], s4, v22, 0
	v_mad_u64_u32 v[48:49], s[0:1], s20, v30, 0
	v_add3_u32 v23, v23, v56, v31
	v_lshlrev_b64 v[22:23], 3, v[22:23]
	v_mov_b32_e32 v57, s11
	v_lshlrev_b64 v[20:21], 3, v[20:21]
	s_mov_b32 s8, 0xbf0a6770
	s_mov_b32 s2, 0x3f575c64
	;; [unrolled: 1-line block ×9, first 2 shown]
	s_waitcnt vmcnt(4)
	v_pk_mul_f32 v[50:51], v[50:51], v[26:27] op_sel_hi:[0,1]
	v_pk_mul_f32 v[52:53], v[52:53], v[28:29] op_sel_hi:[0,1]
	v_pk_fma_f32 v[54:55], v[8:9], v[26:27], v[50:51] op_sel:[0,0,1] op_sel_hi:[1,1,0] neg_lo:[0,0,1] neg_hi:[0,0,1]
	v_pk_fma_f32 v[26:27], v[8:9], v[26:27], v[50:51] op_sel:[0,0,1] op_sel_hi:[0,1,0]
	s_waitcnt lgkmcnt(0)
	v_mov_b32_e32 v8, v19
	v_pk_fma_f32 v[50:51], v[10:11], v[28:29], v[52:53] op_sel:[0,0,1] op_sel_hi:[1,1,0] neg_lo:[0,0,1] neg_hi:[0,0,1]
	v_pk_fma_f32 v[28:29], v[10:11], v[28:29], v[52:53] op_sel:[0,0,1] op_sel_hi:[0,1,0]
	v_mov_b32_e32 v10, v17
	s_waitcnt vmcnt(3)
	v_pk_mul_f32 v[8:9], v[8:9], v[34:35] op_sel_hi:[0,1]
	v_pk_mul_f32 v[10:11], v[10:11], v[32:33] op_sel_hi:[0,1]
	v_pk_fma_f32 v[52:53], v[18:19], v[34:35], v[8:9] op_sel:[0,0,1] op_sel_hi:[1,1,0] neg_lo:[0,0,1] neg_hi:[0,0,1]
	v_pk_fma_f32 v[18:19], v[18:19], v[34:35], v[8:9] op_sel:[0,0,1] op_sel_hi:[0,1,0]
	v_add_u32_e32 v26, 10, v30
	v_mov_b32_e32 v8, v49
	v_pk_fma_f32 v[34:35], v[16:17], v[32:33], v[10:11] op_sel:[0,0,1] op_sel_hi:[1,1,0] neg_lo:[0,0,1] neg_hi:[0,0,1]
	v_pk_fma_f32 v[32:33], v[16:17], v[32:33], v[10:11] op_sel:[0,0,1] op_sel_hi:[0,1,0]
	v_mad_u64_u32 v[10:11], s[0:1], s20, v26, 0
	v_mad_u64_u32 v[8:9], s[0:1], s21, v30, v[8:9]
	v_add_u32_e32 v28, 20, v30
	v_mov_b32_e32 v49, v8
	v_mov_b32_e32 v8, v11
	v_add_co_u32_e32 v11, vcc, s10, v22
	v_mad_u64_u32 v[16:17], s[0:1], s20, v28, 0
	v_addc_co_u32_e32 v31, vcc, v57, v23, vcc
	v_mov_b32_e32 v18, v17
	v_mad_u64_u32 v[8:9], s[0:1], s21, v26, v[8:9]
	v_add_co_u32_e32 v26, vcc, v11, v20
	v_mad_u64_u32 v[22:23], s[0:1], s21, v28, v[18:19]
	v_addc_co_u32_e32 v28, vcc, v31, v21, vcc
	v_lshlrev_b64 v[20:21], 3, v[48:49]
	v_mov_b32_e32 v11, v8
	v_add_co_u32_e32 v48, vcc, v26, v20
	v_addc_co_u32_e32 v49, vcc, v28, v21, vcc
	v_lshlrev_b64 v[8:9], 3, v[10:11]
	v_mov_b32_e32 v18, v5
	v_add_co_u32_e32 v56, vcc, v26, v8
	v_addc_co_u32_e32 v57, vcc, v28, v9, vcc
	s_waitcnt vmcnt(2)
	v_pk_mul_f32 v[8:9], v[18:19], v[36:37] op_sel_hi:[0,1]
	v_mov_b32_e32 v17, v22
	v_pk_fma_f32 v[58:59], v[4:5], v[36:37], v[8:9] op_sel:[0,0,1] op_sel_hi:[1,1,0] neg_lo:[0,0,1] neg_hi:[0,0,1]
	v_pk_fma_f32 v[22:23], v[4:5], v[36:37], v[8:9] op_sel:[0,0,1] op_sel_hi:[0,1,0]
	v_mov_b32_e32 v4, v7
	v_pk_mul_f32 v[4:5], v[4:5], v[38:39] op_sel_hi:[0,1]
	v_pk_fma_f32 v[36:37], v[6:7], v[38:39], v[4:5] op_sel:[0,0,1] op_sel_hi:[1,1,0] neg_lo:[0,0,1] neg_hi:[0,0,1]
	v_pk_fma_f32 v[38:39], v[6:7], v[38:39], v[4:5] op_sel:[0,0,1] op_sel_hi:[0,1,0]
	v_mov_b32_e32 v4, v15
	s_waitcnt vmcnt(1)
	v_pk_mul_f32 v[4:5], v[4:5], v[42:43] op_sel_hi:[0,1]
	v_pk_fma_f32 v[60:61], v[14:15], v[42:43], v[4:5] op_sel:[0,0,1] op_sel_hi:[1,1,0] neg_lo:[0,0,1] neg_hi:[0,0,1]
	v_pk_fma_f32 v[42:43], v[14:15], v[42:43], v[4:5] op_sel:[0,0,1] op_sel_hi:[0,1,0]
	v_mov_b32_e32 v4, v13
	v_pk_mul_f32 v[4:5], v[4:5], v[40:41] op_sel_hi:[0,1]
	v_pk_fma_f32 v[62:63], v[12:13], v[40:41], v[4:5] op_sel:[0,0,1] op_sel_hi:[1,1,0] neg_lo:[0,0,1] neg_hi:[0,0,1]
	v_pk_fma_f32 v[40:41], v[12:13], v[40:41], v[4:5] op_sel:[0,0,1] op_sel_hi:[0,1,0]
	v_mov_b32_e32 v4, v1
	s_waitcnt vmcnt(0)
	v_pk_mul_f32 v[4:5], v[4:5], v[44:45] op_sel_hi:[0,1]
	v_pk_fma_f32 v[64:65], v[0:1], v[44:45], v[4:5] op_sel:[0,0,1] op_sel_hi:[1,1,0] neg_lo:[0,0,1] neg_hi:[0,0,1]
	v_pk_fma_f32 v[44:45], v[0:1], v[44:45], v[4:5] op_sel:[0,0,1] op_sel_hi:[0,1,0]
	v_mov_b32_e32 v0, v3
	v_add_u32_e32 v32, 30, v30
	v_pk_mul_f32 v[0:1], v[0:1], v[46:47] op_sel_hi:[0,1]
	v_pk_fma_f32 v[66:67], v[2:3], v[46:47], v[0:1] op_sel:[0,0,1] op_sel_hi:[1,1,0] neg_lo:[0,0,1] neg_hi:[0,0,1]
	v_pk_fma_f32 v[46:47], v[2:3], v[46:47], v[0:1] op_sel:[0,0,1] op_sel_hi:[0,1,0]
	v_mad_u64_u32 v[0:1], s[0:1], s20, v32, 0
	v_mov_b32_e32 v2, v1
	v_lshlrev_b64 v[10:11], 3, v[16:17]
	v_mad_u64_u32 v[2:3], s[0:1], s21, v32, v[2:3]
	v_add_co_u32_e32 v16, vcc, v26, v10
	v_mov_b32_e32 v1, v2
	v_addc_co_u32_e32 v17, vcc, v28, v11, vcc
	v_lshlrev_b64 v[0:1], 3, v[0:1]
	v_add_co_u32_e32 v14, vcc, v26, v0
	v_add_u32_e32 v3, 40, v30
	v_addc_co_u32_e32 v15, vcc, v28, v1, vcc
	v_mad_u64_u32 v[0:1], s[0:1], s20, v3, 0
	v_mov_b32_e32 v2, v1
	v_mad_u64_u32 v[2:3], s[0:1], s21, v3, v[2:3]
	v_mov_b32_e32 v1, v2
	v_lshlrev_b64 v[0:1], 3, v[0:1]
	v_add_co_u32_e32 v12, vcc, v26, v0
	v_add_u32_e32 v3, 50, v30
	v_addc_co_u32_e32 v13, vcc, v28, v1, vcc
	v_mad_u64_u32 v[0:1], s[0:1], s20, v3, 0
	v_mov_b32_e32 v2, v1
	v_mad_u64_u32 v[2:3], s[0:1], s21, v3, v[2:3]
	v_add_u32_e32 v5, 60, v30
	v_mov_b32_e32 v1, v2
	v_mad_u64_u32 v[2:3], s[0:1], s20, v5, 0
	v_mov_b32_e32 v4, v3
	v_mad_u64_u32 v[4:5], s[0:1], s21, v5, v[4:5]
	v_add_u32_e32 v7, 0x46, v30
	v_mov_b32_e32 v3, v4
	v_mad_u64_u32 v[4:5], s[0:1], s20, v7, 0
	v_mov_b32_e32 v6, v5
	v_mad_u64_u32 v[6:7], s[0:1], s21, v7, v[6:7]
	v_or_b32_e32 v9, 0x50, v30
	v_lshlrev_b64 v[0:1], 3, v[0:1]
	v_mov_b32_e32 v5, v6
	v_mad_u64_u32 v[6:7], s[0:1], s20, v9, 0
	v_add_co_u32_e32 v0, vcc, v26, v0
	v_mov_b32_e32 v8, v7
	v_addc_co_u32_e32 v1, vcc, v28, v1, vcc
	v_lshlrev_b64 v[2:3], 3, v[2:3]
	v_mad_u64_u32 v[8:9], s[0:1], s21, v9, v[8:9]
	v_add_u32_e32 v11, 0x5a, v30
	v_add_co_u32_e32 v2, vcc, v26, v2
	v_mov_b32_e32 v7, v8
	v_mad_u64_u32 v[8:9], s[0:1], s20, v11, 0
	v_addc_co_u32_e32 v3, vcc, v28, v3, vcc
	v_lshlrev_b64 v[4:5], 3, v[4:5]
	v_mov_b32_e32 v10, v9
	v_add_co_u32_e32 v4, vcc, v26, v4
	v_mad_u64_u32 v[10:11], s[0:1], s21, v11, v[10:11]
	v_add_u32_e32 v20, 0x64, v30
	v_addc_co_u32_e32 v5, vcc, v28, v5, vcc
	v_lshlrev_b64 v[6:7], 3, v[6:7]
	v_mov_b32_e32 v9, v10
	v_mad_u64_u32 v[10:11], s[0:1], s20, v20, 0
	v_add_co_u32_e32 v6, vcc, v26, v6
	v_mov_b32_e32 v18, v11
	v_addc_co_u32_e32 v7, vcc, v28, v7, vcc
	v_lshlrev_b64 v[8:9], 3, v[8:9]
	v_mad_u64_u32 v[20:21], s[0:1], s21, v20, v[18:19]
	v_add_co_u32_e32 v8, vcc, v26, v8
	v_mov_b32_e32 v11, v20
	v_addc_co_u32_e32 v9, vcc, v28, v9, vcc
	v_lshlrev_b64 v[10:11], 3, v[10:11]
	v_mov_b32_e32 v55, v27
	v_mov_b32_e32 v53, v19
	v_add_co_u32_e32 v10, vcc, v26, v10
	v_mov_b32_e32 v51, v29
	v_mov_b32_e32 v35, v33
	v_pk_add_f32 v[26:27], v[54:55], v[52:53] neg_lo:[0,1] neg_hi:[0,1]
	v_addc_co_u32_e32 v11, vcc, v28, v11, vcc
	v_pk_add_f32 v[20:21], v[52:53], v[54:55]
	v_mov_b32_e32 v59, v23
	v_pk_add_f32 v[22:23], v[50:51], v[34:35] neg_lo:[0,1] neg_hi:[0,1]
	v_pk_mul_f32 v[28:29], v[26:27], s[8:9] op_sel:[1,0] op_sel_hi:[0,0]
	v_pk_add_f32 v[18:19], v[34:35], v[50:51]
	s_mov_b32 s0, 0x3ed4b147
	v_pk_mul_f32 v[30:31], v[22:23], s[18:19] op_sel:[1,0] op_sel_hi:[0,0]
	v_pk_fma_f32 v[32:33], v[20:21], s[2:3], v[28:29] op_sel_hi:[1,0,1]
	v_pk_fma_f32 v[28:29], v[20:21], s[2:3], v[28:29] op_sel_hi:[1,0,1] neg_lo:[0,0,1] neg_hi:[0,0,1]
	v_mov_b32_e32 v37, v39
	v_mov_b32_e32 v63, v41
	v_mov_b32_e32 v38, v32
	v_mov_b32_e32 v39, v29
	v_pk_fma_f32 v[40:41], v[18:19], s[0:1], v[30:31] op_sel_hi:[1,0,1]
	v_pk_fma_f32 v[30:31], v[18:19], s[0:1], v[30:31] op_sel_hi:[1,0,1] neg_lo:[0,0,1] neg_hi:[0,0,1]
	v_mov_b32_e32 v61, v43
	v_pk_add_f32 v[38:39], v[24:25], v[38:39]
	v_mov_b32_e32 v42, v40
	v_mov_b32_e32 v43, v31
	v_pk_add_f32 v[38:39], v[38:39], v[42:43]
	v_pk_add_f32 v[42:43], v[24:25], v[54:55]
	;; [unrolled: 1-line block ×4, first 2 shown]
	v_mov_b32_e32 v65, v45
	v_pk_add_f32 v[42:43], v[42:43], v[36:37]
	v_mov_b32_e32 v67, v47
	v_pk_add_f32 v[42:43], v[42:43], v[64:65]
	v_pk_add_f32 v[42:43], v[66:67], v[42:43]
	;; [unrolled: 1-line block ×5, first 2 shown]
	v_pk_add_f32 v[58:59], v[58:59], v[60:61] neg_lo:[0,1] neg_hi:[0,1]
	v_pk_add_f32 v[34:35], v[34:35], v[42:43]
	v_pk_mul_f32 v[42:43], v[58:59], s[6:7] op_sel:[1,0] op_sel_hi:[0,0]
	v_pk_add_f32 v[34:35], v[52:53], v[34:35]
	v_pk_add_f32 v[50:51], v[62:63], v[36:37]
	v_pk_add_f32 v[36:37], v[36:37], v[62:63] neg_lo:[0,1] neg_hi:[0,1]
	global_store_dwordx2 v[48:49], v[34:35], off
	v_pk_fma_f32 v[34:35], v[54:55], s[4:5], v[42:43] op_sel_hi:[1,0,1]
	v_pk_fma_f32 v[42:43], v[54:55], s[4:5], v[42:43] op_sel_hi:[1,0,1] neg_lo:[0,0,1] neg_hi:[0,0,1]
	s_mov_b32 s10, 0xbf27a4f4
	v_pk_mul_f32 v[52:53], v[36:37], s[12:13] op_sel:[1,0] op_sel_hi:[0,0]
	v_mov_b32_e32 v48, v34
	v_mov_b32_e32 v49, v43
	v_pk_add_f32 v[38:39], v[38:39], v[48:49]
	v_pk_fma_f32 v[48:49], v[50:51], s[10:11], v[52:53] op_sel_hi:[1,0,1]
	v_pk_fma_f32 v[52:53], v[50:51], s[10:11], v[52:53] op_sel_hi:[1,0,1] neg_lo:[0,0,1] neg_hi:[0,0,1]
	v_mov_b32_e32 v29, v33
	v_pk_add_f32 v[46:47], v[64:65], v[66:67] neg_lo:[0,1] neg_hi:[0,1]
	v_mov_b32_e32 v60, v48
	v_mov_b32_e32 v61, v53
	;; [unrolled: 1-line block ×3, first 2 shown]
	v_pk_add_f32 v[28:29], v[24:25], v[28:29]
	v_pk_add_f32 v[44:45], v[66:67], v[64:65]
	;; [unrolled: 1-line block ×3, first 2 shown]
	v_pk_mul_f32 v[60:61], v[46:47], s[16:17] op_sel:[1,0] op_sel_hi:[0,0]
	v_pk_add_f32 v[28:29], v[28:29], v[30:31]
	v_mov_b32_e32 v43, v35
	v_pk_fma_f32 v[62:63], v[44:45], s[14:15], v[60:61] op_sel_hi:[1,0,1]
	v_pk_fma_f32 v[60:61], v[44:45], s[14:15], v[60:61] op_sel_hi:[1,0,1] neg_lo:[0,0,1] neg_hi:[0,0,1]
	v_pk_add_f32 v[28:29], v[28:29], v[42:43]
	v_mov_b32_e32 v53, v49
	v_mov_b32_e32 v65, v61
	v_pk_add_f32 v[28:29], v[28:29], v[52:53]
	v_mov_b32_e32 v61, v63
	v_pk_add_f32 v[28:29], v[28:29], v[60:61]
	global_store_dwordx2 v[56:57], v[28:29], off
	v_pk_mul_f32 v[28:29], v[26:27], s[18:19] op_sel:[1,0] op_sel_hi:[0,0]
	v_pk_mul_f32 v[30:31], v[22:23], s[12:13] op_sel:[1,0] op_sel_hi:[0,0]
	v_pk_fma_f32 v[40:41], v[20:21], s[0:1], v[28:29] op_sel_hi:[1,0,1]
	v_pk_fma_f32 v[28:29], v[20:21], s[0:1], v[28:29] op_sel_hi:[1,0,1] neg_lo:[0,0,1] neg_hi:[0,0,1]
	s_mov_b32 s20, 0x3e903f40
	v_mov_b32_e32 v42, v40
	v_mov_b32_e32 v43, v29
	v_pk_fma_f32 v[48:49], v[18:19], s[10:11], v[30:31] op_sel_hi:[1,0,1]
	v_pk_fma_f32 v[30:31], v[18:19], s[10:11], v[30:31] op_sel_hi:[1,0,1] neg_lo:[0,0,1] neg_hi:[0,0,1]
	v_pk_mul_f32 v[32:33], v[58:59], s[20:21] op_sel:[1,0] op_sel_hi:[0,0]
	v_pk_add_f32 v[42:43], v[24:25], v[42:43]
	v_mov_b32_e32 v52, v48
	v_mov_b32_e32 v53, v31
	v_pk_add_f32 v[42:43], v[42:43], v[52:53]
	v_pk_fma_f32 v[52:53], v[54:55], s[14:15], v[32:33] op_sel_hi:[1,0,1]
	v_pk_fma_f32 v[32:33], v[54:55], s[14:15], v[32:33] op_sel_hi:[1,0,1] neg_lo:[0,0,1] neg_hi:[0,0,1]
	v_pk_mul_f32 v[34:35], v[36:37], s[22:23] op_sel:[1,0] op_sel_hi:[0,0]
	v_mov_b32_e32 v56, v52
	v_mov_b32_e32 v57, v33
	v_pk_add_f32 v[42:43], v[42:43], v[56:57]
	v_pk_fma_f32 v[56:57], v[50:51], s[4:5], v[34:35] op_sel_hi:[1,0,1]
	v_pk_fma_f32 v[34:35], v[50:51], s[4:5], v[34:35] op_sel_hi:[1,0,1] neg_lo:[0,0,1] neg_hi:[0,0,1]
	v_mov_b32_e32 v29, v41
	v_mov_b32_e32 v60, v56
	;; [unrolled: 1-line block ×3, first 2 shown]
	s_mov_b32 s18, 0x3f0a6770
	v_mov_b32_e32 v31, v49
	v_pk_add_f32 v[28:29], v[24:25], v[28:29]
	v_pk_add_f32 v[42:43], v[42:43], v[60:61]
	v_pk_mul_f32 v[60:61], v[46:47], s[18:19] op_sel:[1,0] op_sel_hi:[0,0]
	v_pk_add_f32 v[28:29], v[28:29], v[30:31]
	v_mov_b32_e32 v33, v53
	v_mov_b32_e32 v64, v62
	v_pk_fma_f32 v[62:63], v[44:45], s[2:3], v[60:61] op_sel_hi:[1,0,1]
	v_pk_fma_f32 v[60:61], v[44:45], s[2:3], v[60:61] op_sel_hi:[1,0,1] neg_lo:[0,0,1] neg_hi:[0,0,1]
	v_pk_add_f32 v[28:29], v[28:29], v[32:33]
	v_mov_b32_e32 v35, v57
	v_pk_add_f32 v[38:39], v[38:39], v[64:65]
	v_mov_b32_e32 v65, v61
	;; [unrolled: 2-line block ×3, first 2 shown]
	v_pk_add_f32 v[28:29], v[28:29], v[60:61]
	global_store_dwordx2 v[16:17], v[28:29], off
	v_pk_mul_f32 v[16:17], v[26:27], s[6:7] op_sel:[1,0] op_sel_hi:[0,0]
	v_pk_fma_f32 v[28:29], v[20:21], s[4:5], v[16:17] op_sel_hi:[1,0,1]
	v_pk_fma_f32 v[16:17], v[20:21], s[4:5], v[16:17] op_sel_hi:[1,0,1] neg_lo:[0,0,1] neg_hi:[0,0,1]
	v_pk_mul_f32 v[32:33], v[22:23], s[20:21] op_sel:[1,0] op_sel_hi:[0,0]
	v_mov_b32_e32 v30, v28
	v_mov_b32_e32 v31, v17
	v_pk_fma_f32 v[34:35], v[18:19], s[14:15], v[32:33] op_sel_hi:[1,0,1]
	v_pk_fma_f32 v[32:33], v[18:19], s[14:15], v[32:33] op_sel_hi:[1,0,1] neg_lo:[0,0,1] neg_hi:[0,0,1]
	v_pk_add_f32 v[30:31], v[24:25], v[30:31]
	v_mov_b32_e32 v40, v34
	v_mov_b32_e32 v41, v33
	s_mov_b32 s20, 0x3f68dda4
	v_pk_add_f32 v[30:31], v[30:31], v[40:41]
	v_pk_mul_f32 v[40:41], v[58:59], s[20:21] op_sel:[1,0] op_sel_hi:[0,0]
	v_pk_fma_f32 v[48:49], v[54:55], s[0:1], v[40:41] op_sel_hi:[1,0,1]
	v_pk_fma_f32 v[40:41], v[54:55], s[0:1], v[40:41] op_sel_hi:[1,0,1] neg_lo:[0,0,1] neg_hi:[0,0,1]
	v_mov_b32_e32 v52, v48
	v_mov_b32_e32 v53, v41
	v_pk_add_f32 v[30:31], v[30:31], v[52:53]
	v_pk_mul_f32 v[52:53], v[36:37], s[8:9] op_sel:[1,0] op_sel_hi:[0,0]
	v_pk_fma_f32 v[56:57], v[50:51], s[2:3], v[52:53] op_sel_hi:[1,0,1]
	v_pk_fma_f32 v[52:53], v[50:51], s[2:3], v[52:53] op_sel_hi:[1,0,1] neg_lo:[0,0,1] neg_hi:[0,0,1]
	v_mov_b32_e32 v17, v29
	v_mov_b32_e32 v60, v56
	v_mov_b32_e32 v61, v53
	v_mov_b32_e32 v33, v35
	v_pk_add_f32 v[16:17], v[24:25], v[16:17]
	v_pk_add_f32 v[30:31], v[30:31], v[60:61]
	v_pk_mul_f32 v[60:61], v[46:47], s[12:13] op_sel:[1,0] op_sel_hi:[0,0]
	v_pk_add_f32 v[16:17], v[16:17], v[32:33]
	v_mov_b32_e32 v41, v49
	v_mov_b32_e32 v64, v62
	v_pk_fma_f32 v[62:63], v[44:45], s[10:11], v[60:61] op_sel_hi:[1,0,1]
	v_pk_fma_f32 v[60:61], v[44:45], s[10:11], v[60:61] op_sel_hi:[1,0,1] neg_lo:[0,0,1] neg_hi:[0,0,1]
	v_pk_add_f32 v[16:17], v[16:17], v[40:41]
	v_mov_b32_e32 v53, v57
	v_pk_add_f32 v[42:43], v[42:43], v[64:65]
	v_mov_b32_e32 v65, v61
	;; [unrolled: 2-line block ×3, first 2 shown]
	v_pk_add_f32 v[16:17], v[16:17], v[60:61]
	global_store_dwordx2 v[14:15], v[16:17], off
	v_pk_mul_f32 v[14:15], v[26:27], s[12:13] op_sel:[1,0] op_sel_hi:[0,0]
	v_pk_mul_f32 v[16:17], v[22:23], s[22:23] op_sel:[1,0] op_sel_hi:[0,0]
	v_pk_fma_f32 v[34:35], v[20:21], s[10:11], v[14:15] op_sel_hi:[1,0,1]
	v_pk_fma_f32 v[14:15], v[20:21], s[10:11], v[14:15] op_sel_hi:[1,0,1] neg_lo:[0,0,1] neg_hi:[0,0,1]
	v_mov_b32_e32 v40, v34
	v_mov_b32_e32 v41, v15
	v_pk_fma_f32 v[48:49], v[18:19], s[4:5], v[16:17] op_sel_hi:[1,0,1]
	v_pk_fma_f32 v[16:17], v[18:19], s[4:5], v[16:17] op_sel_hi:[1,0,1] neg_lo:[0,0,1] neg_hi:[0,0,1]
	v_pk_mul_f32 v[28:29], v[58:59], s[8:9] op_sel:[1,0] op_sel_hi:[0,0]
	v_pk_add_f32 v[40:41], v[24:25], v[40:41]
	v_mov_b32_e32 v52, v48
	v_mov_b32_e32 v53, v17
	v_pk_add_f32 v[40:41], v[40:41], v[52:53]
	v_pk_fma_f32 v[52:53], v[54:55], s[2:3], v[28:29] op_sel_hi:[1,0,1]
	v_pk_fma_f32 v[28:29], v[54:55], s[2:3], v[28:29] op_sel_hi:[1,0,1] neg_lo:[0,0,1] neg_hi:[0,0,1]
	v_pk_mul_f32 v[32:33], v[36:37], s[16:17] op_sel:[1,0] op_sel_hi:[0,0]
	v_mov_b32_e32 v56, v52
	v_mov_b32_e32 v57, v29
	v_pk_add_f32 v[40:41], v[40:41], v[56:57]
	v_pk_fma_f32 v[56:57], v[50:51], s[14:15], v[32:33] op_sel_hi:[1,0,1]
	v_pk_fma_f32 v[32:33], v[50:51], s[14:15], v[32:33] op_sel_hi:[1,0,1] neg_lo:[0,0,1] neg_hi:[0,0,1]
	v_mov_b32_e32 v15, v35
	v_mov_b32_e32 v60, v56
	;; [unrolled: 1-line block ×4, first 2 shown]
	v_pk_add_f32 v[14:15], v[24:25], v[14:15]
	v_pk_add_f32 v[40:41], v[40:41], v[60:61]
	v_pk_mul_f32 v[60:61], v[46:47], s[20:21] op_sel:[1,0] op_sel_hi:[0,0]
	v_pk_add_f32 v[14:15], v[14:15], v[16:17]
	v_mov_b32_e32 v29, v53
	v_mov_b32_e32 v64, v62
	v_pk_fma_f32 v[62:63], v[44:45], s[0:1], v[60:61] op_sel_hi:[1,0,1]
	v_pk_fma_f32 v[60:61], v[44:45], s[0:1], v[60:61] op_sel_hi:[1,0,1] neg_lo:[0,0,1] neg_hi:[0,0,1]
	v_pk_add_f32 v[14:15], v[14:15], v[28:29]
	v_mov_b32_e32 v33, v57
	v_pk_add_f32 v[30:31], v[30:31], v[64:65]
	v_mov_b32_e32 v65, v61
	;; [unrolled: 2-line block ×3, first 2 shown]
	v_pk_add_f32 v[14:15], v[14:15], v[60:61]
	global_store_dwordx2 v[12:13], v[14:15], off
	v_pk_mul_f32 v[12:13], v[26:27], s[16:17] op_sel:[1,0] op_sel_hi:[0,0]
	v_pk_fma_f32 v[14:15], v[20:21], s[14:15], v[12:13] op_sel_hi:[1,0,1]
	v_pk_fma_f32 v[12:13], v[20:21], s[14:15], v[12:13] op_sel_hi:[1,0,1] neg_lo:[0,0,1] neg_hi:[0,0,1]
	v_pk_mul_f32 v[20:21], v[22:23], s[18:19] op_sel:[1,0] op_sel_hi:[0,0]
	v_mov_b32_e32 v16, v14
	v_mov_b32_e32 v17, v13
	v_pk_fma_f32 v[22:23], v[18:19], s[2:3], v[20:21] op_sel_hi:[1,0,1]
	v_pk_fma_f32 v[18:19], v[18:19], s[2:3], v[20:21] op_sel_hi:[1,0,1] neg_lo:[0,0,1] neg_hi:[0,0,1]
	v_pk_add_f32 v[16:17], v[24:25], v[16:17]
	v_mov_b32_e32 v20, v22
	v_mov_b32_e32 v21, v19
	v_pk_add_f32 v[16:17], v[16:17], v[20:21]
	v_pk_mul_f32 v[20:21], v[58:59], s[12:13] op_sel:[1,0] op_sel_hi:[0,0]
	v_pk_fma_f32 v[26:27], v[54:55], s[10:11], v[20:21] op_sel_hi:[1,0,1]
	v_pk_fma_f32 v[20:21], v[54:55], s[10:11], v[20:21] op_sel_hi:[1,0,1] neg_lo:[0,0,1] neg_hi:[0,0,1]
	v_mov_b32_e32 v28, v26
	v_mov_b32_e32 v29, v21
	v_pk_add_f32 v[16:17], v[16:17], v[28:29]
	v_pk_mul_f32 v[28:29], v[36:37], s[20:21] op_sel:[1,0] op_sel_hi:[0,0]
	v_pk_fma_f32 v[32:33], v[50:51], s[0:1], v[28:29] op_sel_hi:[1,0,1]
	v_pk_fma_f32 v[28:29], v[50:51], s[0:1], v[28:29] op_sel_hi:[1,0,1] neg_lo:[0,0,1] neg_hi:[0,0,1]
	v_mov_b32_e32 v13, v15
	v_mov_b32_e32 v34, v32
	;; [unrolled: 1-line block ×3, first 2 shown]
	v_pk_add_f32 v[12:13], v[24:25], v[12:13]
	v_mov_b32_e32 v19, v23
	v_pk_add_f32 v[16:17], v[16:17], v[34:35]
	v_pk_mul_f32 v[34:35], v[46:47], s[6:7] op_sel:[1,0] op_sel_hi:[0,0]
	v_pk_add_f32 v[12:13], v[12:13], v[18:19]
	v_mov_b32_e32 v21, v27
	v_pk_fma_f32 v[36:37], v[44:45], s[4:5], v[34:35] op_sel_hi:[1,0,1]
	v_pk_fma_f32 v[34:35], v[44:45], s[4:5], v[34:35] op_sel_hi:[1,0,1] neg_lo:[0,0,1] neg_hi:[0,0,1]
	v_pk_add_f32 v[12:13], v[12:13], v[20:21]
	v_mov_b32_e32 v29, v33
	v_mov_b32_e32 v45, v35
	v_pk_add_f32 v[12:13], v[12:13], v[28:29]
	v_mov_b32_e32 v35, v37
	v_mov_b32_e32 v64, v62
	;; [unrolled: 1-line block ×3, first 2 shown]
	v_pk_add_f32 v[12:13], v[12:13], v[34:35]
	v_pk_add_f32 v[40:41], v[40:41], v[64:65]
	;; [unrolled: 1-line block ×3, first 2 shown]
	global_store_dwordx2 v[0:1], v[12:13], off
	global_store_dwordx2 v[2:3], v[16:17], off
	global_store_dwordx2 v[4:5], v[40:41], off
	global_store_dwordx2 v[6:7], v[30:31], off
	global_store_dwordx2 v[8:9], v[42:43], off
	global_store_dwordx2 v[10:11], v[38:39], off
.LBB0_16:
	s_endpgm
	.section	.rodata,"a",@progbits
	.p2align	6, 0x0
	.amdhsa_kernel fft_rtc_fwd_len110_factors_2_5_11_wgs_198_tpt_11_sp_op_CI_CI_sbrr_dirReg
		.amdhsa_group_segment_fixed_size 0
		.amdhsa_private_segment_fixed_size 0
		.amdhsa_kernarg_size 104
		.amdhsa_user_sgpr_count 6
		.amdhsa_user_sgpr_private_segment_buffer 1
		.amdhsa_user_sgpr_dispatch_ptr 0
		.amdhsa_user_sgpr_queue_ptr 0
		.amdhsa_user_sgpr_kernarg_segment_ptr 1
		.amdhsa_user_sgpr_dispatch_id 0
		.amdhsa_user_sgpr_flat_scratch_init 0
		.amdhsa_user_sgpr_kernarg_preload_length 0
		.amdhsa_user_sgpr_kernarg_preload_offset 0
		.amdhsa_user_sgpr_private_segment_size 0
		.amdhsa_uses_dynamic_stack 0
		.amdhsa_system_sgpr_private_segment_wavefront_offset 0
		.amdhsa_system_sgpr_workgroup_id_x 1
		.amdhsa_system_sgpr_workgroup_id_y 0
		.amdhsa_system_sgpr_workgroup_id_z 0
		.amdhsa_system_sgpr_workgroup_info 0
		.amdhsa_system_vgpr_workitem_id 0
		.amdhsa_next_free_vgpr 68
		.amdhsa_next_free_sgpr 32
		.amdhsa_accum_offset 68
		.amdhsa_reserve_vcc 1
		.amdhsa_reserve_flat_scratch 0
		.amdhsa_float_round_mode_32 0
		.amdhsa_float_round_mode_16_64 0
		.amdhsa_float_denorm_mode_32 3
		.amdhsa_float_denorm_mode_16_64 3
		.amdhsa_dx10_clamp 1
		.amdhsa_ieee_mode 1
		.amdhsa_fp16_overflow 0
		.amdhsa_tg_split 0
		.amdhsa_exception_fp_ieee_invalid_op 0
		.amdhsa_exception_fp_denorm_src 0
		.amdhsa_exception_fp_ieee_div_zero 0
		.amdhsa_exception_fp_ieee_overflow 0
		.amdhsa_exception_fp_ieee_underflow 0
		.amdhsa_exception_fp_ieee_inexact 0
		.amdhsa_exception_int_div_zero 0
	.end_amdhsa_kernel
	.text
.Lfunc_end0:
	.size	fft_rtc_fwd_len110_factors_2_5_11_wgs_198_tpt_11_sp_op_CI_CI_sbrr_dirReg, .Lfunc_end0-fft_rtc_fwd_len110_factors_2_5_11_wgs_198_tpt_11_sp_op_CI_CI_sbrr_dirReg
                                        ; -- End function
	.section	.AMDGPU.csdata,"",@progbits
; Kernel info:
; codeLenInByte = 6432
; NumSgprs: 36
; NumVgprs: 68
; NumAgprs: 0
; TotalNumVgprs: 68
; ScratchSize: 0
; MemoryBound: 0
; FloatMode: 240
; IeeeMode: 1
; LDSByteSize: 0 bytes/workgroup (compile time only)
; SGPRBlocks: 4
; VGPRBlocks: 8
; NumSGPRsForWavesPerEU: 36
; NumVGPRsForWavesPerEU: 68
; AccumOffset: 68
; Occupancy: 7
; WaveLimiterHint : 1
; COMPUTE_PGM_RSRC2:SCRATCH_EN: 0
; COMPUTE_PGM_RSRC2:USER_SGPR: 6
; COMPUTE_PGM_RSRC2:TRAP_HANDLER: 0
; COMPUTE_PGM_RSRC2:TGID_X_EN: 1
; COMPUTE_PGM_RSRC2:TGID_Y_EN: 0
; COMPUTE_PGM_RSRC2:TGID_Z_EN: 0
; COMPUTE_PGM_RSRC2:TIDIG_COMP_CNT: 0
; COMPUTE_PGM_RSRC3_GFX90A:ACCUM_OFFSET: 16
; COMPUTE_PGM_RSRC3_GFX90A:TG_SPLIT: 0
	.text
	.p2alignl 6, 3212836864
	.fill 256, 4, 3212836864
	.type	__hip_cuid_8e810172eb5cb814,@object ; @__hip_cuid_8e810172eb5cb814
	.section	.bss,"aw",@nobits
	.globl	__hip_cuid_8e810172eb5cb814
__hip_cuid_8e810172eb5cb814:
	.byte	0                               ; 0x0
	.size	__hip_cuid_8e810172eb5cb814, 1

	.ident	"AMD clang version 19.0.0git (https://github.com/RadeonOpenCompute/llvm-project roc-6.4.0 25133 c7fe45cf4b819c5991fe208aaa96edf142730f1d)"
	.section	".note.GNU-stack","",@progbits
	.addrsig
	.addrsig_sym __hip_cuid_8e810172eb5cb814
	.amdgpu_metadata
---
amdhsa.kernels:
  - .agpr_count:     0
    .args:
      - .actual_access:  read_only
        .address_space:  global
        .offset:         0
        .size:           8
        .value_kind:     global_buffer
      - .offset:         8
        .size:           8
        .value_kind:     by_value
      - .actual_access:  read_only
        .address_space:  global
        .offset:         16
        .size:           8
        .value_kind:     global_buffer
      - .actual_access:  read_only
        .address_space:  global
        .offset:         24
        .size:           8
        .value_kind:     global_buffer
      - .actual_access:  read_only
        .address_space:  global
        .offset:         32
        .size:           8
        .value_kind:     global_buffer
      - .offset:         40
        .size:           8
        .value_kind:     by_value
      - .actual_access:  read_only
        .address_space:  global
        .offset:         48
        .size:           8
        .value_kind:     global_buffer
      - .actual_access:  read_only
        .address_space:  global
        .offset:         56
        .size:           8
        .value_kind:     global_buffer
      - .offset:         64
        .size:           4
        .value_kind:     by_value
      - .actual_access:  read_only
        .address_space:  global
        .offset:         72
        .size:           8
        .value_kind:     global_buffer
      - .actual_access:  read_only
        .address_space:  global
        .offset:         80
        .size:           8
        .value_kind:     global_buffer
      - .actual_access:  read_only
        .address_space:  global
        .offset:         88
        .size:           8
        .value_kind:     global_buffer
      - .actual_access:  write_only
        .address_space:  global
        .offset:         96
        .size:           8
        .value_kind:     global_buffer
    .group_segment_fixed_size: 0
    .kernarg_segment_align: 8
    .kernarg_segment_size: 104
    .language:       OpenCL C
    .language_version:
      - 2
      - 0
    .max_flat_workgroup_size: 198
    .name:           fft_rtc_fwd_len110_factors_2_5_11_wgs_198_tpt_11_sp_op_CI_CI_sbrr_dirReg
    .private_segment_fixed_size: 0
    .sgpr_count:     36
    .sgpr_spill_count: 0
    .symbol:         fft_rtc_fwd_len110_factors_2_5_11_wgs_198_tpt_11_sp_op_CI_CI_sbrr_dirReg.kd
    .uniform_work_group_size: 1
    .uses_dynamic_stack: false
    .vgpr_count:     68
    .vgpr_spill_count: 0
    .wavefront_size: 64
amdhsa.target:   amdgcn-amd-amdhsa--gfx90a
amdhsa.version:
  - 1
  - 2
...

	.end_amdgpu_metadata
